;; amdgpu-corpus repo=ROCm/rocFFT kind=compiled arch=gfx1201 opt=O3
	.text
	.amdgcn_target "amdgcn-amd-amdhsa--gfx1201"
	.amdhsa_code_object_version 6
	.protected	fft_rtc_back_len2000_factors_5_5_5_16_wgs_125_tpt_125_halfLds_dp_ip_CI_unitstride_sbrr_dirReg ; -- Begin function fft_rtc_back_len2000_factors_5_5_5_16_wgs_125_tpt_125_halfLds_dp_ip_CI_unitstride_sbrr_dirReg
	.globl	fft_rtc_back_len2000_factors_5_5_5_16_wgs_125_tpt_125_halfLds_dp_ip_CI_unitstride_sbrr_dirReg
	.p2align	8
	.type	fft_rtc_back_len2000_factors_5_5_5_16_wgs_125_tpt_125_halfLds_dp_ip_CI_unitstride_sbrr_dirReg,@function
fft_rtc_back_len2000_factors_5_5_5_16_wgs_125_tpt_125_halfLds_dp_ip_CI_unitstride_sbrr_dirReg: ; @fft_rtc_back_len2000_factors_5_5_5_16_wgs_125_tpt_125_halfLds_dp_ip_CI_unitstride_sbrr_dirReg
; %bb.0:
	s_clause 0x2
	s_load_b128 s[4:7], s[0:1], 0x0
	s_load_b64 s[8:9], s[0:1], 0x50
	s_load_b64 s[10:11], s[0:1], 0x18
	v_mul_u32_u24_e32 v1, 0x20d, v0
	v_mov_b32_e32 v3, 0
	s_delay_alu instid0(VALU_DEP_2) | instskip(NEXT) | instid1(VALU_DEP_1)
	v_lshrrev_b32_e32 v1, 16, v1
	v_add_nc_u32_e32 v5, ttmp9, v1
	v_mov_b32_e32 v1, 0
	v_mov_b32_e32 v2, 0
	;; [unrolled: 1-line block ×3, first 2 shown]
	s_wait_kmcnt 0x0
	v_cmp_lt_u64_e64 s2, s[6:7], 2
	s_delay_alu instid0(VALU_DEP_1)
	s_and_b32 vcc_lo, exec_lo, s2
	s_cbranch_vccnz .LBB0_8
; %bb.1:
	s_load_b64 s[2:3], s[0:1], 0x10
	v_mov_b32_e32 v1, 0
	v_mov_b32_e32 v2, 0
	s_add_nc_u64 s[12:13], s[10:11], 8
	s_mov_b64 s[14:15], 1
	s_wait_kmcnt 0x0
	s_add_nc_u64 s[16:17], s[2:3], 8
	s_mov_b32 s3, 0
.LBB0_2:                                ; =>This Inner Loop Header: Depth=1
	s_load_b64 s[18:19], s[16:17], 0x0
                                        ; implicit-def: $vgpr7_vgpr8
	s_mov_b32 s2, exec_lo
	s_wait_kmcnt 0x0
	v_or_b32_e32 v4, s19, v6
	s_delay_alu instid0(VALU_DEP_1)
	v_cmpx_ne_u64_e32 0, v[3:4]
	s_wait_alu 0xfffe
	s_xor_b32 s20, exec_lo, s2
	s_cbranch_execz .LBB0_4
; %bb.3:                                ;   in Loop: Header=BB0_2 Depth=1
	s_cvt_f32_u32 s2, s18
	s_cvt_f32_u32 s21, s19
	s_sub_nc_u64 s[24:25], 0, s[18:19]
	s_wait_alu 0xfffe
	s_delay_alu instid0(SALU_CYCLE_1) | instskip(SKIP_1) | instid1(SALU_CYCLE_2)
	s_fmamk_f32 s2, s21, 0x4f800000, s2
	s_wait_alu 0xfffe
	v_s_rcp_f32 s2, s2
	s_delay_alu instid0(TRANS32_DEP_1) | instskip(SKIP_1) | instid1(SALU_CYCLE_2)
	s_mul_f32 s2, s2, 0x5f7ffffc
	s_wait_alu 0xfffe
	s_mul_f32 s21, s2, 0x2f800000
	s_wait_alu 0xfffe
	s_delay_alu instid0(SALU_CYCLE_2) | instskip(SKIP_1) | instid1(SALU_CYCLE_2)
	s_trunc_f32 s21, s21
	s_wait_alu 0xfffe
	s_fmamk_f32 s2, s21, 0xcf800000, s2
	s_cvt_u32_f32 s23, s21
	s_wait_alu 0xfffe
	s_delay_alu instid0(SALU_CYCLE_1) | instskip(SKIP_1) | instid1(SALU_CYCLE_2)
	s_cvt_u32_f32 s22, s2
	s_wait_alu 0xfffe
	s_mul_u64 s[26:27], s[24:25], s[22:23]
	s_wait_alu 0xfffe
	s_mul_hi_u32 s29, s22, s27
	s_mul_i32 s28, s22, s27
	s_mul_hi_u32 s2, s22, s26
	s_mul_i32 s30, s23, s26
	s_wait_alu 0xfffe
	s_add_nc_u64 s[28:29], s[2:3], s[28:29]
	s_mul_hi_u32 s21, s23, s26
	s_mul_hi_u32 s31, s23, s27
	s_add_co_u32 s2, s28, s30
	s_wait_alu 0xfffe
	s_add_co_ci_u32 s2, s29, s21
	s_mul_i32 s26, s23, s27
	s_add_co_ci_u32 s27, s31, 0
	s_wait_alu 0xfffe
	s_add_nc_u64 s[26:27], s[2:3], s[26:27]
	s_wait_alu 0xfffe
	v_add_co_u32 v4, s2, s22, s26
	s_delay_alu instid0(VALU_DEP_1) | instskip(SKIP_1) | instid1(VALU_DEP_1)
	s_cmp_lg_u32 s2, 0
	s_add_co_ci_u32 s23, s23, s27
	v_readfirstlane_b32 s22, v4
	s_wait_alu 0xfffe
	s_delay_alu instid0(VALU_DEP_1)
	s_mul_u64 s[24:25], s[24:25], s[22:23]
	s_wait_alu 0xfffe
	s_mul_hi_u32 s27, s22, s25
	s_mul_i32 s26, s22, s25
	s_mul_hi_u32 s2, s22, s24
	s_mul_i32 s28, s23, s24
	s_wait_alu 0xfffe
	s_add_nc_u64 s[26:27], s[2:3], s[26:27]
	s_mul_hi_u32 s21, s23, s24
	s_mul_hi_u32 s22, s23, s25
	s_wait_alu 0xfffe
	s_add_co_u32 s2, s26, s28
	s_add_co_ci_u32 s2, s27, s21
	s_mul_i32 s24, s23, s25
	s_add_co_ci_u32 s25, s22, 0
	s_wait_alu 0xfffe
	s_add_nc_u64 s[24:25], s[2:3], s[24:25]
	s_wait_alu 0xfffe
	v_add_co_u32 v4, s2, v4, s24
	s_delay_alu instid0(VALU_DEP_1) | instskip(SKIP_1) | instid1(VALU_DEP_1)
	s_cmp_lg_u32 s2, 0
	s_add_co_ci_u32 s2, s23, s25
	v_mul_hi_u32 v13, v5, v4
	s_wait_alu 0xfffe
	v_mad_co_u64_u32 v[7:8], null, v5, s2, 0
	v_mad_co_u64_u32 v[9:10], null, v6, v4, 0
	;; [unrolled: 1-line block ×3, first 2 shown]
	s_delay_alu instid0(VALU_DEP_3) | instskip(SKIP_1) | instid1(VALU_DEP_4)
	v_add_co_u32 v4, vcc_lo, v13, v7
	s_wait_alu 0xfffd
	v_add_co_ci_u32_e32 v7, vcc_lo, 0, v8, vcc_lo
	s_delay_alu instid0(VALU_DEP_2) | instskip(SKIP_1) | instid1(VALU_DEP_2)
	v_add_co_u32 v4, vcc_lo, v4, v9
	s_wait_alu 0xfffd
	v_add_co_ci_u32_e32 v4, vcc_lo, v7, v10, vcc_lo
	s_wait_alu 0xfffd
	v_add_co_ci_u32_e32 v7, vcc_lo, 0, v12, vcc_lo
	s_delay_alu instid0(VALU_DEP_2) | instskip(SKIP_1) | instid1(VALU_DEP_2)
	v_add_co_u32 v4, vcc_lo, v4, v11
	s_wait_alu 0xfffd
	v_add_co_ci_u32_e32 v9, vcc_lo, 0, v7, vcc_lo
	s_delay_alu instid0(VALU_DEP_2) | instskip(SKIP_1) | instid1(VALU_DEP_3)
	v_mul_lo_u32 v10, s19, v4
	v_mad_co_u64_u32 v[7:8], null, s18, v4, 0
	v_mul_lo_u32 v11, s18, v9
	s_delay_alu instid0(VALU_DEP_2) | instskip(NEXT) | instid1(VALU_DEP_2)
	v_sub_co_u32 v7, vcc_lo, v5, v7
	v_add3_u32 v8, v8, v11, v10
	s_delay_alu instid0(VALU_DEP_1) | instskip(SKIP_1) | instid1(VALU_DEP_1)
	v_sub_nc_u32_e32 v10, v6, v8
	s_wait_alu 0xfffd
	v_subrev_co_ci_u32_e64 v10, s2, s19, v10, vcc_lo
	v_add_co_u32 v11, s2, v4, 2
	s_wait_alu 0xf1ff
	v_add_co_ci_u32_e64 v12, s2, 0, v9, s2
	v_sub_co_u32 v13, s2, v7, s18
	v_sub_co_ci_u32_e32 v8, vcc_lo, v6, v8, vcc_lo
	s_wait_alu 0xf1ff
	v_subrev_co_ci_u32_e64 v10, s2, 0, v10, s2
	s_delay_alu instid0(VALU_DEP_3) | instskip(NEXT) | instid1(VALU_DEP_3)
	v_cmp_le_u32_e32 vcc_lo, s18, v13
	v_cmp_eq_u32_e64 s2, s19, v8
	s_wait_alu 0xfffd
	v_cndmask_b32_e64 v13, 0, -1, vcc_lo
	v_cmp_le_u32_e32 vcc_lo, s19, v10
	s_wait_alu 0xfffd
	v_cndmask_b32_e64 v14, 0, -1, vcc_lo
	v_cmp_le_u32_e32 vcc_lo, s18, v7
	;; [unrolled: 3-line block ×3, first 2 shown]
	s_wait_alu 0xfffd
	v_cndmask_b32_e64 v15, 0, -1, vcc_lo
	v_cmp_eq_u32_e32 vcc_lo, s19, v10
	s_wait_alu 0xf1ff
	s_delay_alu instid0(VALU_DEP_2)
	v_cndmask_b32_e64 v7, v15, v7, s2
	s_wait_alu 0xfffd
	v_cndmask_b32_e32 v10, v14, v13, vcc_lo
	v_add_co_u32 v13, vcc_lo, v4, 1
	s_wait_alu 0xfffd
	v_add_co_ci_u32_e32 v14, vcc_lo, 0, v9, vcc_lo
	s_delay_alu instid0(VALU_DEP_3) | instskip(SKIP_2) | instid1(VALU_DEP_3)
	v_cmp_ne_u32_e32 vcc_lo, 0, v10
	s_wait_alu 0xfffd
	v_cndmask_b32_e32 v10, v13, v11, vcc_lo
	v_cndmask_b32_e32 v8, v14, v12, vcc_lo
	v_cmp_ne_u32_e32 vcc_lo, 0, v7
	s_wait_alu 0xfffd
	s_delay_alu instid0(VALU_DEP_2)
	v_dual_cndmask_b32 v7, v4, v10 :: v_dual_cndmask_b32 v8, v9, v8
.LBB0_4:                                ;   in Loop: Header=BB0_2 Depth=1
	s_wait_alu 0xfffe
	s_and_not1_saveexec_b32 s2, s20
	s_cbranch_execz .LBB0_6
; %bb.5:                                ;   in Loop: Header=BB0_2 Depth=1
	v_cvt_f32_u32_e32 v4, s18
	s_sub_co_i32 s20, 0, s18
	s_delay_alu instid0(VALU_DEP_1) | instskip(NEXT) | instid1(TRANS32_DEP_1)
	v_rcp_iflag_f32_e32 v4, v4
	v_mul_f32_e32 v4, 0x4f7ffffe, v4
	s_delay_alu instid0(VALU_DEP_1) | instskip(SKIP_1) | instid1(VALU_DEP_1)
	v_cvt_u32_f32_e32 v4, v4
	s_wait_alu 0xfffe
	v_mul_lo_u32 v7, s20, v4
	s_delay_alu instid0(VALU_DEP_1) | instskip(NEXT) | instid1(VALU_DEP_1)
	v_mul_hi_u32 v7, v4, v7
	v_add_nc_u32_e32 v4, v4, v7
	s_delay_alu instid0(VALU_DEP_1) | instskip(NEXT) | instid1(VALU_DEP_1)
	v_mul_hi_u32 v4, v5, v4
	v_mul_lo_u32 v7, v4, s18
	v_add_nc_u32_e32 v8, 1, v4
	s_delay_alu instid0(VALU_DEP_2) | instskip(NEXT) | instid1(VALU_DEP_1)
	v_sub_nc_u32_e32 v7, v5, v7
	v_subrev_nc_u32_e32 v9, s18, v7
	v_cmp_le_u32_e32 vcc_lo, s18, v7
	s_wait_alu 0xfffd
	s_delay_alu instid0(VALU_DEP_2) | instskip(NEXT) | instid1(VALU_DEP_1)
	v_dual_cndmask_b32 v7, v7, v9 :: v_dual_cndmask_b32 v4, v4, v8
	v_cmp_le_u32_e32 vcc_lo, s18, v7
	s_delay_alu instid0(VALU_DEP_2) | instskip(SKIP_1) | instid1(VALU_DEP_1)
	v_add_nc_u32_e32 v8, 1, v4
	s_wait_alu 0xfffd
	v_dual_cndmask_b32 v7, v4, v8 :: v_dual_mov_b32 v8, v3
.LBB0_6:                                ;   in Loop: Header=BB0_2 Depth=1
	s_wait_alu 0xfffe
	s_or_b32 exec_lo, exec_lo, s2
	s_load_b64 s[20:21], s[12:13], 0x0
	s_delay_alu instid0(VALU_DEP_1)
	v_mul_lo_u32 v4, v8, s18
	v_mul_lo_u32 v11, v7, s19
	v_mad_co_u64_u32 v[9:10], null, v7, s18, 0
	s_add_nc_u64 s[14:15], s[14:15], 1
	s_add_nc_u64 s[12:13], s[12:13], 8
	s_wait_alu 0xfffe
	v_cmp_ge_u64_e64 s2, s[14:15], s[6:7]
	s_add_nc_u64 s[16:17], s[16:17], 8
	s_delay_alu instid0(VALU_DEP_2) | instskip(NEXT) | instid1(VALU_DEP_3)
	v_add3_u32 v4, v10, v11, v4
	v_sub_co_u32 v5, vcc_lo, v5, v9
	s_wait_alu 0xfffd
	s_delay_alu instid0(VALU_DEP_2) | instskip(SKIP_3) | instid1(VALU_DEP_2)
	v_sub_co_ci_u32_e32 v4, vcc_lo, v6, v4, vcc_lo
	s_and_b32 vcc_lo, exec_lo, s2
	s_wait_kmcnt 0x0
	v_mul_lo_u32 v6, s21, v5
	v_mul_lo_u32 v4, s20, v4
	v_mad_co_u64_u32 v[1:2], null, s20, v5, v[1:2]
	s_delay_alu instid0(VALU_DEP_1)
	v_add3_u32 v2, v6, v2, v4
	s_wait_alu 0xfffe
	s_cbranch_vccnz .LBB0_9
; %bb.7:                                ;   in Loop: Header=BB0_2 Depth=1
	v_dual_mov_b32 v5, v7 :: v_dual_mov_b32 v6, v8
	s_branch .LBB0_2
.LBB0_8:
	v_dual_mov_b32 v8, v6 :: v_dual_mov_b32 v7, v5
.LBB0_9:
	s_lshl_b64 s[2:3], s[6:7], 3
	v_mul_hi_u32 v3, 0x20c49bb, v0
	s_wait_alu 0xfffe
	s_add_nc_u64 s[2:3], s[10:11], s[2:3]
	v_mov_b32_e32 v110, 0
	s_load_b64 s[2:3], s[2:3], 0x0
	s_load_b64 s[0:1], s[0:1], 0x20
                                        ; implicit-def: $vgpr46_vgpr47
                                        ; implicit-def: $vgpr18_vgpr19
                                        ; implicit-def: $vgpr22_vgpr23
                                        ; implicit-def: $vgpr42_vgpr43
                                        ; implicit-def: $vgpr34_vgpr35
                                        ; implicit-def: $vgpr30_vgpr31
                                        ; implicit-def: $vgpr62_vgpr63
                                        ; implicit-def: $vgpr58_vgpr59
                                        ; implicit-def: $vgpr54_vgpr55
                                        ; implicit-def: $vgpr38_vgpr39
                                        ; implicit-def: $vgpr26_vgpr27
                                        ; implicit-def: $vgpr66_vgpr67
                                        ; implicit-def: $vgpr74_vgpr75
                                        ; implicit-def: $vgpr82_vgpr83
                                        ; implicit-def: $vgpr78_vgpr79
                                        ; implicit-def: $vgpr86_vgpr87
                                        ; implicit-def: $vgpr10_vgpr11
                                        ; implicit-def: $vgpr70_vgpr71
                                        ; implicit-def: $vgpr50_vgpr51
	s_delay_alu instid0(VALU_DEP_2) | instskip(NEXT) | instid1(VALU_DEP_1)
	v_mul_u32_u24_e32 v3, 0x7d, v3
	v_sub_nc_u32_e32 v111, v0, v3
	s_wait_kmcnt 0x0
	v_mul_lo_u32 v4, s2, v8
	v_mul_lo_u32 v5, s3, v7
	v_mad_co_u64_u32 v[1:2], null, s2, v7, v[1:2]
	v_cmp_gt_u64_e32 vcc_lo, s[0:1], v[7:8]
	s_delay_alu instid0(VALU_DEP_2) | instskip(NEXT) | instid1(VALU_DEP_1)
	v_add3_u32 v2, v5, v2, v4
	v_lshlrev_b64_e32 v[108:109], 4, v[1:2]
                                        ; implicit-def: $vgpr2_vgpr3
	s_and_saveexec_b32 s1, vcc_lo
	s_cbranch_execz .LBB0_13
; %bb.10:
	v_mov_b32_e32 v112, 0
	s_delay_alu instid0(VALU_DEP_2) | instskip(SKIP_2) | instid1(VALU_DEP_3)
	v_add_co_u32 v2, s0, s8, v108
	s_wait_alu 0xf1ff
	v_add_co_ci_u32_e64 v3, s0, s9, v109, s0
	v_lshlrev_b64_e32 v[0:1], 4, v[111:112]
	s_mov_b32 s2, exec_lo
                                        ; implicit-def: $vgpr84_vgpr85
                                        ; implicit-def: $vgpr76_vgpr77
                                        ; implicit-def: $vgpr80_vgpr81
                                        ; implicit-def: $vgpr72_vgpr73
                                        ; implicit-def: $vgpr64_vgpr65
	s_delay_alu instid0(VALU_DEP_1) | instskip(SKIP_1) | instid1(VALU_DEP_2)
	v_add_co_u32 v4, s0, v2, v0
	s_wait_alu 0xf1ff
	v_add_co_ci_u32_e64 v5, s0, v3, v1, s0
	s_clause 0xe
	global_load_b128 v[48:51], v[4:5], off
	global_load_b128 v[40:43], v[4:5], off offset:2000
	global_load_b128 v[16:19], v[4:5], off offset:12800
	;; [unrolled: 1-line block ×14, first 2 shown]
	v_cmpx_gt_u32_e32 25, v111
; %bb.11:
	s_clause 0x4
	global_load_b128 v[84:87], v[4:5], off offset:6000
	global_load_b128 v[76:79], v[4:5], off offset:12400
	;; [unrolled: 1-line block ×5, first 2 shown]
; %bb.12:
	s_wait_alu 0xfffe
	s_or_b32 exec_lo, exec_lo, s2
	v_mov_b32_e32 v110, v111
.LBB0_13:
	s_wait_alu 0xfffe
	s_or_b32 exec_lo, exec_lo, s1
	s_wait_loadcnt 0x8
	v_add_f64_e32 v[4:5], v[44:45], v[0:1]
	s_wait_loadcnt 0x4
	v_add_f64_e32 v[6:7], v[16:17], v[20:21]
	v_add_f64_e32 v[12:13], v[8:9], v[68:69]
	s_wait_loadcnt 0x2
	v_add_f64_e32 v[14:15], v[32:33], v[28:29]
	s_wait_loadcnt 0x0
	v_add_f64_e32 v[88:89], v[56:57], v[24:25]
	v_add_f64_e32 v[90:91], v[52:53], v[36:37]
	;; [unrolled: 1-line block ×4, first 2 shown]
	v_add_f64_e64 v[96:97], v[18:19], -v[22:23]
	v_add_f64_e64 v[98:99], v[46:47], -v[2:3]
	v_add_f64_e32 v[100:101], v[44:45], v[48:49]
	v_add_f64_e64 v[102:103], v[34:35], -v[30:31]
	v_add_f64_e32 v[104:105], v[40:41], v[68:69]
	v_add_f64_e32 v[106:107], v[60:61], v[56:57]
	;; [unrolled: 1-line block ×3, first 2 shown]
	v_add_f64_e64 v[114:115], v[70:71], -v[10:11]
	v_add_f64_e64 v[116:117], v[78:79], -v[66:67]
	;; [unrolled: 1-line block ×3, first 2 shown]
	s_mov_b32 s0, 0x134454ff
	s_mov_b32 s1, 0xbfee6f0e
	;; [unrolled: 1-line block ×3, first 2 shown]
	s_wait_alu 0xfffe
	s_mov_b32 s2, s0
	v_add_f64_e64 v[120:121], v[16:17], -v[44:45]
	v_add_f64_e64 v[122:123], v[20:21], -v[0:1]
	;; [unrolled: 1-line block ×14, first 2 shown]
	v_fma_f64 v[4:5], v[4:5], -0.5, v[48:49]
	v_fma_f64 v[6:7], v[6:7], -0.5, v[48:49]
	;; [unrolled: 1-line block ×5, first 2 shown]
	v_add_f64_e64 v[88:89], v[58:59], -v[26:27]
	v_fma_f64 v[60:61], v[90:91], -0.5, v[60:61]
	v_fma_f64 v[92:93], v[92:93], -0.5, v[84:85]
	v_fma_f64 v[84:85], v[94:95], -0.5, v[84:85]
	v_add_f64_e64 v[48:49], v[54:55], -v[38:39]
	v_add_f64_e64 v[90:91], v[44:45], -v[16:17]
	;; [unrolled: 1-line block ×3, first 2 shown]
	v_add_f64_e32 v[100:101], v[16:17], v[100:101]
	v_add_f64_e32 v[104:105], v[32:33], v[104:105]
	;; [unrolled: 1-line block ×4, first 2 shown]
	s_wait_alu 0xfffe
	v_fma_f64 v[148:149], v[96:97], s[2:3], v[4:5]
	v_fma_f64 v[4:5], v[96:97], s[0:1], v[4:5]
	;; [unrolled: 1-line block ×16, first 2 shown]
	s_mov_b32 s0, 0x4755a5e
	s_mov_b32 s1, 0xbfe2cf23
	;; [unrolled: 1-line block ×3, first 2 shown]
	s_wait_alu 0xfffe
	s_mov_b32 s2, s0
	v_add_f64_e32 v[90:91], v[90:91], v[94:95]
	v_add_f64_e32 v[94:95], v[120:121], v[122:123]
	;; [unrolled: 1-line block ×12, first 2 shown]
	v_fma_f64 v[132:133], v[98:99], s[0:1], v[148:149]
	s_wait_alu 0xfffe
	v_fma_f64 v[4:5], v[98:99], s[2:3], v[4:5]
	v_fma_f64 v[98:99], v[96:97], s[0:1], v[150:151]
	;; [unrolled: 1-line block ×15, first 2 shown]
	s_mov_b32 s0, 0x372fe950
	s_mov_b32 s1, 0x3fd3c6ef
	v_mad_u32_u24 v118, v111, 40, 0
	s_delay_alu instid0(VALU_DEP_1)
	v_add_nc_u32_e32 v119, 0x3a98, v118
	v_add_f64_e32 v[100:101], v[0:1], v[100:101]
	v_add_f64_e32 v[48:49], v[64:65], v[112:113]
	v_add_f64_e32 v[104:105], v[8:9], v[104:105]
	v_add_f64_e32 v[106:107], v[106:107], v[24:25]
	s_wait_alu 0xfffe
	v_fma_f64 v[116:117], v[94:95], s[0:1], v[132:133]
	v_fma_f64 v[4:5], v[94:95], s[0:1], v[4:5]
	v_fma_f64 v[94:95], v[90:91], s[0:1], v[98:99]
	v_fma_f64 v[98:99], v[122:123], s[0:1], v[134:135]
	v_fma_f64 v[12:13], v[122:123], s[0:1], v[12:13]
	v_fma_f64 v[132:133], v[120:121], s[0:1], v[114:115]
	v_add_nc_u32_e32 v123, 0x2710, v118
	v_fma_f64 v[6:7], v[90:91], s[0:1], v[6:7]
	v_fma_f64 v[14:15], v[120:121], s[0:1], v[14:15]
	v_fma_f64 v[90:91], v[124:125], s[0:1], v[60:61]
	v_fma_f64 v[114:115], v[128:129], s[0:1], v[96:97]
	v_fma_f64 v[60:61], v[128:129], s[0:1], v[92:93]
	v_fma_f64 v[112:113], v[130:131], s[0:1], v[102:103]
	v_fma_f64 v[84:85], v[130:131], s[0:1], v[84:85]
	v_fma_f64 v[134:135], v[126:127], s[0:1], v[136:137]
	v_fma_f64 v[40:41], v[126:127], s[0:1], v[40:41]
	v_fma_f64 v[88:89], v[124:125], s[0:1], v[88:89]
	v_cmp_gt_u32_e64 s0, 25, v111
	v_add_nc_u32_e32 v125, 0x1388, v118
	v_add_nc_u32_e32 v124, 0x1398, v118
	;; [unrolled: 1-line block ×4, first 2 shown]
	ds_store_2addr_b64 v118, v[100:101], v[94:95] offset1:1
	ds_store_2addr_b64 v118, v[116:117], v[4:5] offset0:2 offset1:3
	ds_store_2addr_b64 v125, v[104:105], v[132:133] offset1:1
	ds_store_2addr_b64 v124, v[98:99], v[12:13] offset1:1
	;; [unrolled: 1-line block ×4, first 2 shown]
	ds_store_b64 v118, v[6:7] offset:32
	ds_store_b64 v118, v[14:15] offset:5032
	;; [unrolled: 1-line block ×3, first 2 shown]
	s_and_saveexec_b32 s1, s0
	s_cbranch_execz .LBB0_15
; %bb.14:
	ds_store_2addr_b64 v120, v[112:113], v[84:85] offset1:1
	ds_store_2addr_b64 v119, v[48:49], v[114:115] offset1:1
	ds_store_b64 v118, v[60:61] offset:15032
.LBB0_15:
	s_wait_alu 0xfffe
	s_or_b32 exec_lo, exec_lo, s1
	v_lshlrev_b32_e32 v4, 5, v111
	global_wb scope:SCOPE_SE
	s_wait_dscnt 0x0
	s_barrier_signal -1
	s_barrier_wait -1
	global_inv scope:SCOPE_SE
	v_sub_nc_u32_e32 v122, v118, v4
	s_delay_alu instid0(VALU_DEP_1)
	v_add_nc_u32_e32 v12, 0x600, v122
	v_add_nc_u32_e32 v40, 0x1800, v122
	;; [unrolled: 1-line block ×6, first 2 shown]
	ds_load_2addr_b64 v[4:7], v122 offset1:125
	ds_load_2addr_b64 v[12:15], v12 offset0:58 offset1:208
	ds_load_2addr_b64 v[104:107], v40 offset0:32 offset1:157
	;; [unrolled: 1-line block ×6, first 2 shown]
	ds_load_b64 v[116:117], v122 offset:14800
	s_and_saveexec_b32 s1, s0
	s_cbranch_execz .LBB0_17
; %bb.16:
	ds_load_b64 v[48:49], v122 offset:3000
	ds_load_b64 v[114:115], v122 offset:6200
	;; [unrolled: 1-line block ×5, first 2 shown]
.LBB0_17:
	s_wait_alu 0xfffe
	s_or_b32 exec_lo, exec_lo, s1
	v_add_f64_e32 v[40:41], v[18:19], v[22:23]
	v_add_f64_e32 v[126:127], v[46:47], v[2:3]
	;; [unrolled: 1-line block ×9, first 2 shown]
	v_add_f64_e64 v[0:1], v[44:45], -v[0:1]
	v_add_f64_e64 v[16:17], v[16:17], -v[20:21]
	v_add_f64_e32 v[20:21], v[42:43], v[70:71]
	v_add_f64_e32 v[44:45], v[62:63], v[58:59]
	;; [unrolled: 1-line block ×3, first 2 shown]
	v_add_f64_e64 v[8:9], v[68:69], -v[8:9]
	v_add_f64_e64 v[28:29], v[32:33], -v[28:29]
	;; [unrolled: 1-line block ×6, first 2 shown]
	s_mov_b32 s2, 0x134454ff
	s_mov_b32 s3, 0x3fee6f0e
	;; [unrolled: 1-line block ×3, first 2 shown]
	s_wait_alu 0xfffe
	s_mov_b32 s6, s2
	v_add_f64_e64 v[76:77], v[46:47], -v[18:19]
	v_add_f64_e64 v[80:81], v[2:3], -v[22:23]
	;; [unrolled: 1-line block ×5, first 2 shown]
	global_wb scope:SCOPE_SE
	s_wait_dscnt 0x0
	s_barrier_signal -1
	s_barrier_wait -1
	global_inv scope:SCOPE_SE
	v_fma_f64 v[40:41], v[40:41], -0.5, v[50:51]
	v_fma_f64 v[50:51], v[126:127], -0.5, v[50:51]
	;; [unrolled: 1-line block ×8, first 2 shown]
	v_add_f64_e64 v[86:87], v[22:23], -v[2:3]
	v_add_f64_e64 v[126:127], v[70:71], -v[34:35]
	;; [unrolled: 1-line block ×10, first 2 shown]
	v_add_f64_e32 v[18:19], v[18:19], v[140:141]
	v_add_f64_e32 v[20:21], v[34:35], v[20:21]
	;; [unrolled: 1-line block ×4, first 2 shown]
	v_add_f64_e64 v[136:137], v[38:39], -v[26:27]
	v_add_f64_e32 v[76:77], v[76:77], v[80:81]
	v_fma_f64 v[54:55], v[0:1], s[2:3], v[40:41]
	s_wait_alu 0xfffe
	v_fma_f64 v[82:83], v[16:17], s[6:7], v[50:51]
	v_fma_f64 v[50:51], v[16:17], s[2:3], v[50:51]
	;; [unrolled: 1-line block ×15, first 2 shown]
	s_mov_b32 s2, 0x4755a5e
	s_mov_b32 s3, 0x3fe2cf23
	;; [unrolled: 1-line block ×3, first 2 shown]
	s_wait_alu 0xfffe
	s_mov_b32 s6, s2
	v_add_f64_e32 v[46:47], v[46:47], v[86:87]
	v_add_f64_e32 v[80:81], v[128:129], v[126:127]
	;; [unrolled: 1-line block ×11, first 2 shown]
	v_fma_f64 v[34:35], v[16:17], s[2:3], v[54:55]
	v_fma_f64 v[38:39], v[0:1], s[2:3], v[82:83]
	s_wait_alu 0xfffe
	v_fma_f64 v[0:1], v[0:1], s[6:7], v[50:51]
	v_fma_f64 v[44:45], v[28:29], s[2:3], v[140:141]
	;; [unrolled: 1-line block ×14, first 2 shown]
	s_mov_b32 s2, 0x372fe950
	s_mov_b32 s3, 0x3fd3c6ef
	v_add_f64_e32 v[2:3], v[2:3], v[18:19]
	v_add_f64_e32 v[10:11], v[10:11], v[20:21]
	;; [unrolled: 1-line block ×4, first 2 shown]
	s_wait_alu 0xfffe
	v_fma_f64 v[20:21], v[76:77], s[2:3], v[34:35]
	v_fma_f64 v[22:23], v[46:47], s[2:3], v[38:39]
	;; [unrolled: 1-line block ×16, first 2 shown]
	ds_store_2addr_b64 v118, v[2:3], v[20:21] offset1:1
	ds_store_2addr_b64 v118, v[22:23], v[0:1] offset0:2 offset1:3
	ds_store_2addr_b64 v125, v[10:11], v[26:27] offset1:1
	ds_store_2addr_b64 v124, v[30:31], v[8:9] offset1:1
	;; [unrolled: 1-line block ×4, first 2 shown]
	ds_store_b64 v118, v[16:17] offset:32
	ds_store_b64 v118, v[28:29] offset:5032
	;; [unrolled: 1-line block ×3, first 2 shown]
	s_and_saveexec_b32 s1, s0
	s_cbranch_execz .LBB0_19
; %bb.18:
	ds_store_2addr_b64 v120, v[42:43], v[36:37] offset1:1
	ds_store_2addr_b64 v119, v[40:41], v[54:55] offset1:1
	ds_store_b64 v118, v[38:39] offset:15032
.LBB0_19:
	s_wait_alu 0xfffe
	s_or_b32 exec_lo, exec_lo, s1
	v_add_nc_u32_e32 v16, 0x1800, v122
	v_add_nc_u32_e32 v0, 0x600, v122
	;; [unrolled: 1-line block ×6, first 2 shown]
	global_wb scope:SCOPE_SE
	s_wait_dscnt 0x0
	s_barrier_signal -1
	s_barrier_wait -1
	global_inv scope:SCOPE_SE
	ds_load_2addr_b64 v[8:11], v122 offset1:125
	ds_load_2addr_b64 v[0:3], v0 offset0:58 offset1:208
	ds_load_2addr_b64 v[32:35], v16 offset0:32 offset1:157
	;; [unrolled: 1-line block ×6, first 2 shown]
	ds_load_b64 v[56:57], v122 offset:14800
	s_and_saveexec_b32 s1, s0
	s_cbranch_execz .LBB0_21
; %bb.20:
	ds_load_b64 v[40:41], v122 offset:3000
	ds_load_b64 v[54:55], v122 offset:6200
	;; [unrolled: 1-line block ×5, first 2 shown]
.LBB0_21:
	s_wait_alu 0xfffe
	s_or_b32 exec_lo, exec_lo, s1
	v_and_b32_e32 v124, 0xff, v111
	v_add_nc_u16 v125, v111, 0x7d
	v_add_nc_u32_e32 v128, 0xfa, v111
	v_add_nc_u32_e32 v127, 0x177, v111
	s_mov_b32 s2, 0x134454ff
	v_mul_lo_u16 v44, 0xcd, v124
	v_and_b32_e32 v126, 0xff, v125
	v_and_b32_e32 v130, 0xffff, v128
	;; [unrolled: 1-line block ×3, first 2 shown]
	s_mov_b32 s3, 0xbfee6f0e
	v_lshrrev_b16 v76, 10, v44
	v_mul_lo_u16 v44, 0xcd, v126
	s_mov_b32 s7, 0x3fee6f0e
	v_mul_u32_u24_e32 v51, 0xcccd, v129
	s_wait_alu 0xfffe
	s_mov_b32 s6, s2
	v_mul_lo_u16 v45, v76, 5
	v_lshrrev_b16 v77, 10, v44
	v_lshrrev_b32_e32 v134, 18, v51
	s_delay_alu instid0(VALU_DEP_3) | instskip(NEXT) | instid1(VALU_DEP_3)
	v_sub_nc_u16 v44, v111, v45
	v_mul_lo_u16 v46, v77, 5
	v_mul_u32_u24_e32 v45, 0xcccd, v130
	s_delay_alu instid0(VALU_DEP_3) | instskip(NEXT) | instid1(VALU_DEP_3)
	v_and_b32_e32 v132, 0xff, v44
	v_sub_nc_u16 v44, v125, v46
	s_delay_alu instid0(VALU_DEP_3) | instskip(NEXT) | instid1(VALU_DEP_3)
	v_lshrrev_b32_e32 v123, 18, v45
	v_lshlrev_b32_e32 v58, 6, v132
	s_delay_alu instid0(VALU_DEP_3) | instskip(NEXT) | instid1(VALU_DEP_3)
	v_and_b32_e32 v131, 0xff, v44
	v_mul_lo_u16 v50, v123, 5
	s_clause 0x1
	global_load_b128 v[44:47], v58, s[4:5] offset:16
	global_load_b128 v[70:73], v58, s[4:5] offset:48
	v_sub_nc_u16 v50, v128, v50
	v_lshlrev_b32_e32 v59, 6, v131
	s_delay_alu instid0(VALU_DEP_2)
	v_and_b32_e32 v133, 0xffff, v50
	v_mul_lo_u16 v50, v134, 5
	global_load_b128 v[62:65], v59, s[4:5] offset:16
	v_lshlrev_b32_e32 v66, 6, v133
	v_sub_nc_u16 v67, v127, v50
	s_clause 0x6
	global_load_b128 v[136:139], v59, s[4:5] offset:48
	global_load_b128 v[140:143], v59, s[4:5]
	global_load_b128 v[144:147], v66, s[4:5]
	global_load_b128 v[50:53], v58, s[4:5] offset:32
	global_load_b128 v[148:151], v66, s[4:5] offset:16
	;; [unrolled: 1-line block ×4, first 2 shown]
	v_and_b32_e32 v135, 0xffff, v67
	s_delay_alu instid0(VALU_DEP_1)
	v_lshlrev_b32_e32 v59, 6, v135
	s_clause 0x5
	global_load_b128 v[160:163], v58, s[4:5]
	global_load_b128 v[164:167], v66, s[4:5] offset:48
	global_load_b128 v[168:171], v59, s[4:5]
	global_load_b128 v[172:175], v59, s[4:5] offset:16
	global_load_b128 v[176:179], v59, s[4:5] offset:32
	;; [unrolled: 1-line block ×3, first 2 shown]
	global_wb scope:SCOPE_SE
	s_wait_loadcnt_dscnt 0x0
	s_barrier_signal -1
	s_barrier_wait -1
	global_inv scope:SCOPE_SE
	v_mul_f64_e32 v[58:59], v[32:33], v[46:47]
	v_mul_f64_e32 v[46:47], v[104:105], v[46:47]
	;; [unrolled: 1-line block ×21, first 2 shown]
	v_fma_f64 v[68:69], v[104:105], v[44:45], v[58:59]
	v_fma_f64 v[46:47], v[32:33], v[44:45], -v[46:47]
	v_mul_f64_e32 v[32:33], v[38:39], v[182:183]
	v_mul_f64_e32 v[44:45], v[14:15], v[162:163]
	v_fma_f64 v[82:83], v[100:101], v[70:71], v[74:75]
	v_fma_f64 v[58:59], v[106:107], v[62:63], v[66:67]
	v_mul_f64_e32 v[66:67], v[100:101], v[72:73]
	v_fma_f64 v[72:73], v[102:103], v[136:137], v[78:79]
	v_fma_f64 v[80:81], v[96:97], v[140:141], v[80:81]
	;; [unrolled: 1-line block ×5, first 2 shown]
	v_mul_f64_e32 v[120:121], v[92:93], v[150:151]
	v_mul_f64_e32 v[92:93], v[88:89], v[154:155]
	v_fma_f64 v[88:89], v[88:89], v[152:153], v[184:185]
	v_fma_f64 v[86:87], v[90:91], v[156:157], v[186:187]
	v_mul_f64_e32 v[90:91], v[90:91], v[158:159]
	v_fma_f64 v[118:119], v[14:15], v[160:161], v[188:189]
	v_mul_f64_e32 v[14:15], v[116:117], v[166:167]
	;; [unrolled: 2-line block ×6, first 2 shown]
	v_fma_f64 v[50:51], v[22:23], v[50:51], -v[52:53]
	v_fma_f64 v[98:99], v[24:25], v[140:141], -v[142:143]
	v_fma_f64 v[114:115], v[60:61], v[180:181], v[32:33]
	v_fma_f64 v[94:95], v[2:3], v[160:161], -v[44:45]
	v_fma_f64 v[44:45], v[30:31], v[136:137], -v[138:139]
	;; [unrolled: 1-line block ×4, first 2 shown]
	v_add_f64_e64 v[140:141], v[80:81], -v[58:59]
	v_add_f64_e64 v[66:67], v[82:83], -v[96:97]
	;; [unrolled: 1-line block ×3, first 2 shown]
	v_fma_f64 v[84:85], v[20:21], v[148:149], -v[120:121]
	v_fma_f64 v[52:53], v[16:17], v[152:153], -v[92:93]
	;; [unrolled: 1-line block ×3, first 2 shown]
	v_add_f64_e32 v[16:17], v[68:69], v[96:97]
	v_fma_f64 v[90:91], v[18:19], v[156:157], -v[90:91]
	v_add_f64_e32 v[18:19], v[118:119], v[82:83]
	v_fma_f64 v[112:113], v[56:57], v[164:165], -v[14:15]
	;; [unrolled: 2-line block ×6, first 2 shown]
	v_add_f64_e32 v[26:27], v[104:105], v[106:107]
	v_add_f64_e32 v[30:31], v[4:5], v[118:119]
	v_add_f64_e64 v[34:35], v[46:47], -v[50:51]
	v_add_f64_e32 v[36:37], v[6:7], v[80:81]
	v_add_f64_e32 v[38:39], v[12:13], v[74:75]
	;; [unrolled: 1-line block ×3, first 2 shown]
	v_add_f64_e64 v[136:137], v[68:69], -v[118:119]
	v_add_f64_e32 v[28:29], v[100:101], v[114:115]
	v_add_f64_e64 v[142:143], v[72:73], -v[88:89]
	v_add_f64_e64 v[60:61], v[98:99], -v[44:45]
	;; [unrolled: 1-line block ×13, first 2 shown]
	v_fma_f64 v[16:17], v[16:17], -0.5, v[4:5]
	v_fma_f64 v[4:5], v[18:19], -0.5, v[4:5]
	v_add_f64_e64 v[18:19], v[70:71], -v[52:53]
	v_fma_f64 v[14:15], v[14:15], -0.5, v[6:7]
	v_add_f64_e64 v[62:63], v[92:93], -v[112:113]
	;; [unrolled: 2-line block ×5, first 2 shown]
	v_fma_f64 v[26:27], v[26:27], -0.5, v[48:49]
	v_add_f64_e32 v[30:31], v[30:31], v[68:69]
	v_add_f64_e32 v[36:37], v[36:37], v[58:59]
	;; [unrolled: 1-line block ×4, first 2 shown]
	v_fma_f64 v[28:29], v[28:29], -0.5, v[48:49]
	v_add_f64_e64 v[48:49], v[118:119], -v[68:69]
	v_fma_f64 v[164:165], v[32:33], s[2:3], v[16:17]
	s_wait_alu 0xfffe
	v_fma_f64 v[16:17], v[32:33], s[6:7], v[16:17]
	v_fma_f64 v[166:167], v[34:35], s[6:7], v[4:5]
	;; [unrolled: 1-line block ×13, first 2 shown]
	v_add_f64_e32 v[30:31], v[30:31], v[96:97]
	v_add_f64_e32 v[36:37], v[36:37], v[88:89]
	;; [unrolled: 1-line block ×4, first 2 shown]
	v_fma_f64 v[178:179], v[24:25], s[6:7], v[28:29]
	v_fma_f64 v[28:29], v[24:25], s[2:3], v[28:29]
	s_mov_b32 s2, 0x4755a5e
	s_mov_b32 s3, 0xbfe2cf23
	;; [unrolled: 1-line block ×3, first 2 shown]
	s_wait_alu 0xfffe
	s_mov_b32 s6, s2
	v_add_f64_e32 v[48:49], v[48:49], v[66:67]
	v_add_f64_e32 v[66:67], v[136:137], v[138:139]
	;; [unrolled: 1-line block ×8, first 2 shown]
	v_fma_f64 v[148:149], v[34:35], s[2:3], v[164:165]
	s_wait_alu 0xfffe
	v_fma_f64 v[16:17], v[34:35], s[6:7], v[16:17]
	v_fma_f64 v[34:35], v[32:33], s[2:3], v[166:167]
	;; [unrolled: 1-line block ×13, first 2 shown]
	v_add_f64_e32 v[30:31], v[30:31], v[82:83]
	v_add_f64_e32 v[36:37], v[36:37], v[72:73]
	;; [unrolled: 1-line block ×4, first 2 shown]
	v_fma_f64 v[26:27], v[64:65], s[2:3], v[178:179]
	v_fma_f64 v[28:29], v[64:65], s[6:7], v[28:29]
	s_mov_b32 s2, 0x372fe950
	s_mov_b32 s3, 0x3fd3c6ef
	s_wait_alu 0xfffe
	v_fma_f64 v[148:149], v[48:49], s[2:3], v[148:149]
	v_fma_f64 v[16:17], v[48:49], s[2:3], v[16:17]
	;; [unrolled: 1-line block ×14, first 2 shown]
	v_and_b32_e32 v4, 0xffff, v76
	v_and_b32_e32 v6, 0xffff, v77
	v_lshlrev_b32_e32 v7, 3, v132
	v_mul_u32_u24_e32 v24, 0xc8, v123
	v_fma_f64 v[66:67], v[146:147], s[2:3], v[26:27]
	v_fma_f64 v[64:65], v[146:147], s[2:3], v[28:29]
	v_mul_u32_u24_e32 v5, 0xc8, v4
	v_mul_u32_u24_e32 v25, 0xc8, v6
	v_lshlrev_b32_e32 v26, 3, v133
	v_mul_lo_u16 v4, v134, 25
	s_delay_alu instid0(VALU_DEP_4) | instskip(SKIP_2) | instid1(VALU_DEP_2)
	v_add3_u32 v6, 0, v5, v7
	v_lshlrev_b32_e32 v7, 3, v131
	v_lshlrev_b32_e32 v5, 3, v135
	v_add3_u32 v48, 0, v25, v7
	v_add3_u32 v7, 0, v24, v26
	ds_store_2addr_b64 v6, v[30:31], v[148:149] offset1:5
	ds_store_2addr_b64 v6, v[34:35], v[150:151] offset0:10 offset1:15
	ds_store_b64 v6, v[16:17] offset:160
	ds_store_2addr_b64 v48, v[36:37], v[32:33] offset1:5
	ds_store_2addr_b64 v48, v[18:19], v[136:137] offset0:10 offset1:15
	ds_store_b64 v48, v[14:15] offset:160
	;; [unrolled: 3-line block ×3, first 2 shown]
	s_and_saveexec_b32 s1, s0
	s_cbranch_execz .LBB0_23
; %bb.22:
	v_and_b32_e32 v12, 0xffff, v4
	s_delay_alu instid0(VALU_DEP_1) | instskip(NEXT) | instid1(VALU_DEP_1)
	v_lshlrev_b32_e32 v12, 3, v12
	v_add3_u32 v12, 0, v5, v12
	ds_store_2addr_b64 v12, v[56:57], v[62:63] offset1:5
	ds_store_2addr_b64 v12, v[66:67], v[64:65] offset0:10 offset1:15
	ds_store_b64 v12, v[60:61] offset:160
.LBB0_23:
	s_wait_alu 0xfffe
	s_or_b32 exec_lo, exec_lo, s1
	v_add_nc_u32_e32 v20, 0x1800, v122
	v_add_nc_u32_e32 v12, 0x600, v122
	;; [unrolled: 1-line block ×6, first 2 shown]
	global_wb scope:SCOPE_SE
	s_wait_dscnt 0x0
	s_barrier_signal -1
	s_barrier_wait -1
	global_inv scope:SCOPE_SE
	ds_load_2addr_b64 v[16:19], v122 offset1:125
	ds_load_2addr_b64 v[12:15], v12 offset0:58 offset1:208
	ds_load_2addr_b64 v[32:35], v20 offset0:32 offset1:157
	;; [unrolled: 1-line block ×6, first 2 shown]
	ds_load_b64 v[76:77], v122 offset:14800
	v_lshl_add_u32 v123, v111, 3, 0
	s_and_saveexec_b32 s1, s0
	s_cbranch_execz .LBB0_25
; %bb.24:
	ds_load_b64 v[56:57], v123 offset:3000
	ds_load_b64 v[62:63], v122 offset:6200
	;; [unrolled: 1-line block ×5, first 2 shown]
.LBB0_25:
	s_wait_alu 0xfffe
	s_or_b32 exec_lo, exec_lo, s1
	v_add_f64_e32 v[131:132], v[46:47], v[50:51]
	v_add_f64_e32 v[135:136], v[70:71], v[52:53]
	;; [unrolled: 1-line block ×9, first 2 shown]
	v_add_f64_e64 v[82:83], v[118:119], -v[82:83]
	v_add_f64_e64 v[68:69], v[68:69], -v[96:97]
	v_add_f64_e32 v[96:97], v[10:11], v[98:99]
	v_add_f64_e32 v[118:119], v[0:1], v[92:93]
	;; [unrolled: 1-line block ×3, first 2 shown]
	v_add_f64_e64 v[72:73], v[80:81], -v[72:73]
	v_add_f64_e64 v[58:59], v[58:59], -v[88:89]
	;; [unrolled: 1-line block ×6, first 2 shown]
	s_mov_b32 s2, 0x134454ff
	s_mov_b32 s3, 0x3fee6f0e
	;; [unrolled: 1-line block ×3, first 2 shown]
	s_wait_alu 0xfffe
	s_mov_b32 s6, s2
	v_add_f64_e64 v[104:105], v[94:95], -v[46:47]
	v_add_f64_e64 v[106:107], v[2:3], -v[50:51]
	;; [unrolled: 1-line block ×6, first 2 shown]
	global_wb scope:SCOPE_SE
	s_wait_dscnt 0x0
	s_barrier_signal -1
	s_barrier_wait -1
	global_inv scope:SCOPE_SE
	v_fma_f64 v[131:132], v[131:132], -0.5, v[8:9]
	v_fma_f64 v[80:81], v[135:136], -0.5, v[10:11]
	;; [unrolled: 1-line block ×8, first 2 shown]
	v_add_f64_e64 v[133:134], v[98:99], -v[70:71]
	v_add_f64_e64 v[135:136], v[44:45], -v[52:53]
	;; [unrolled: 1-line block ×8, first 2 shown]
	v_add_f64_e32 v[46:47], v[147:148], v[46:47]
	v_add_f64_e32 v[70:71], v[96:97], v[70:71]
	;; [unrolled: 1-line block ×4, first 2 shown]
	v_add_f64_e64 v[137:138], v[52:53], -v[44:45]
	v_add_f64_e64 v[143:144], v[90:91], -v[112:113]
	v_add_f64_e32 v[104:105], v[104:105], v[106:107]
	v_add_f64_e32 v[94:95], v[94:95], v[114:115]
	v_fma_f64 v[116:117], v[82:83], s[2:3], v[131:132]
	s_wait_alu 0xfffe
	v_fma_f64 v[118:119], v[82:83], s[6:7], v[131:132]
	v_fma_f64 v[149:150], v[58:59], s[6:7], v[10:11]
	;; [unrolled: 1-line block ×15, first 2 shown]
	s_mov_b32 s2, 0x4755a5e
	s_mov_b32 s3, 0x3fe2cf23
	;; [unrolled: 1-line block ×3, first 2 shown]
	s_wait_alu 0xfffe
	s_mov_b32 s6, s2
	v_add_f64_e32 v[106:107], v[133:134], v[135:136]
	v_add_f64_e32 v[114:115], v[139:140], v[141:142]
	;; [unrolled: 1-line block ×10, first 2 shown]
	v_fma_f64 v[84:85], v[68:69], s[2:3], v[116:117]
	s_wait_alu 0xfffe
	v_fma_f64 v[68:69], v[68:69], s[6:7], v[118:119]
	v_fma_f64 v[96:97], v[72:73], s[2:3], v[149:150]
	;; [unrolled: 1-line block ×15, first 2 shown]
	s_mov_b32 s2, 0x372fe950
	s_mov_b32 s3, 0x3fd3c6ef
	v_add_f64_e32 v[2:3], v[46:47], v[2:3]
	v_add_f64_e32 v[44:45], v[49:50], v[44:45]
	;; [unrolled: 1-line block ×4, first 2 shown]
	s_wait_alu 0xfffe
	v_fma_f64 v[42:43], v[104:105], s[2:3], v[84:85]
	v_fma_f64 v[49:50], v[104:105], s[2:3], v[68:69]
	;; [unrolled: 1-line block ×16, first 2 shown]
	ds_store_2addr_b64 v6, v[2:3], v[42:43] offset1:5
	ds_store_2addr_b64 v6, v[51:52], v[8:9] offset0:10 offset1:15
	ds_store_b64 v6, v[49:50] offset:160
	ds_store_2addr_b64 v48, v[44:45], v[82:83] offset1:5
	ds_store_2addr_b64 v48, v[84:85], v[10:11] offset0:10 offset1:15
	ds_store_b64 v48, v[80:81] offset:160
	;; [unrolled: 3-line block ×3, first 2 shown]
	s_and_saveexec_b32 s1, s0
	s_cbranch_execz .LBB0_27
; %bb.26:
	v_and_b32_e32 v0, 0xffff, v4
	s_delay_alu instid0(VALU_DEP_1) | instskip(NEXT) | instid1(VALU_DEP_1)
	v_lshlrev_b32_e32 v0, 3, v0
	v_add3_u32 v0, 0, v5, v0
	ds_store_2addr_b64 v0, v[58:59], v[70:71] offset1:5
	ds_store_2addr_b64 v0, v[74:75], v[72:73] offset0:10 offset1:15
	ds_store_b64 v0, v[68:69] offset:160
.LBB0_27:
	s_wait_alu 0xfffe
	s_or_b32 exec_lo, exec_lo, s1
	v_add_nc_u32_e32 v8, 0x1800, v122
	v_add_nc_u32_e32 v0, 0x600, v122
	v_add_nc_u32_e32 v9, 0x2000, v122
	v_add_nc_u32_e32 v10, 0x3000, v122
	v_add_nc_u32_e32 v11, 0x1000, v122
	v_add_nc_u32_e32 v78, 0x2800, v122
	global_wb scope:SCOPE_SE
	s_wait_dscnt 0x0
	s_barrier_signal -1
	s_barrier_wait -1
	global_inv scope:SCOPE_SE
	ds_load_2addr_b64 v[4:7], v122 offset1:125
	ds_load_2addr_b64 v[0:3], v0 offset0:58 offset1:208
	ds_load_2addr_b64 v[48:51], v8 offset0:32 offset1:157
	;; [unrolled: 1-line block ×6, first 2 shown]
	ds_load_b64 v[86:87], v122 offset:14800
	s_and_saveexec_b32 s1, s0
	s_cbranch_execz .LBB0_29
; %bb.28:
	ds_load_b64 v[58:59], v123 offset:3000
	ds_load_b64 v[70:71], v122 offset:6200
	;; [unrolled: 1-line block ×5, first 2 shown]
.LBB0_29:
	s_wait_alu 0xfffe
	s_or_b32 exec_lo, exec_lo, s1
	v_mul_u32_u24_e32 v78, 0x47af, v130
	v_mul_lo_u16 v80, v124, 41
	v_mul_lo_u16 v81, v126, 41
	s_mov_b32 s2, 0x134454ff
	s_mov_b32 s3, 0xbfee6f0e
	v_lshrrev_b32_e32 v78, 16, v78
	v_lshrrev_b16 v93, 10, v80
	v_lshrrev_b16 v89, 10, v81
	s_mov_b32 s7, 0x3fee6f0e
	s_wait_alu 0xfffe
	s_mov_b32 s6, s2
	v_sub_nc_u16 v79, v128, v78
	s_mov_b32 s10, 0x4755a5e
	v_mul_lo_u16 v80, v89, 25
	s_mov_b32 s11, 0xbfe2cf23
	s_mov_b32 s13, 0x3fe2cf23
	v_lshrrev_b16 v79, 1, v79
	s_mov_b32 s12, s10
	s_mov_b32 s14, 0x372fe950
	;; [unrolled: 1-line block ×3, first 2 shown]
	s_delay_alu instid0(VALU_DEP_1) | instskip(SKIP_1) | instid1(VALU_DEP_2)
	v_add_nc_u16 v78, v79, v78
	v_mul_lo_u16 v79, v93, 25
	v_lshrrev_b16 v88, 4, v78
	s_delay_alu instid0(VALU_DEP_2) | instskip(SKIP_1) | instid1(VALU_DEP_3)
	v_sub_nc_u16 v78, v111, v79
	v_sub_nc_u16 v79, v125, v80
	v_mul_lo_u16 v80, v88, 25
	s_delay_alu instid0(VALU_DEP_3) | instskip(NEXT) | instid1(VALU_DEP_3)
	v_and_b32_e32 v91, 0xff, v78
	v_and_b32_e32 v92, 0xff, v79
	;; [unrolled: 1-line block ×3, first 2 shown]
	s_delay_alu instid0(VALU_DEP_4) | instskip(NEXT) | instid1(VALU_DEP_4)
	v_sub_nc_u16 v78, v128, v80
	v_lshlrev_b32_e32 v79, 6, v91
	s_delay_alu instid0(VALU_DEP_4)
	v_lshlrev_b32_e32 v80, 6, v92
	s_clause 0x3
	global_load_b128 v[94:97], v79, s[4:5] offset:320
	global_load_b128 v[98:101], v79, s[4:5] offset:336
	;; [unrolled: 1-line block ×4, first 2 shown]
	v_and_b32_e32 v90, 0xffff, v78
	s_delay_alu instid0(VALU_DEP_1)
	v_lshlrev_b32_e32 v78, 6, v90
	s_clause 0x7
	global_load_b128 v[116:119], v80, s[4:5] offset:336
	global_load_b128 v[130:133], v80, s[4:5] offset:368
	;; [unrolled: 1-line block ×8, first 2 shown]
	v_mul_u32_u24_e32 v78, 0x47af, v129
	s_delay_alu instid0(VALU_DEP_1) | instskip(NEXT) | instid1(VALU_DEP_1)
	v_lshrrev_b32_e32 v78, 16, v78
	v_sub_nc_u16 v79, v127, v78
	s_delay_alu instid0(VALU_DEP_1) | instskip(NEXT) | instid1(VALU_DEP_1)
	v_lshrrev_b16 v79, 1, v79
	v_add_nc_u16 v78, v79, v78
	s_delay_alu instid0(VALU_DEP_1) | instskip(NEXT) | instid1(VALU_DEP_1)
	v_lshrrev_b16 v78, 4, v78
	v_mul_lo_u16 v78, v78, 25
	s_delay_alu instid0(VALU_DEP_1) | instskip(NEXT) | instid1(VALU_DEP_1)
	v_sub_nc_u16 v78, v127, v78
	v_and_b32_e32 v180, 0xffff, v78
	s_delay_alu instid0(VALU_DEP_1)
	v_lshlrev_b32_e32 v78, 6, v180
	s_clause 0x3
	global_load_b128 v[124:127], v78, s[4:5] offset:320
	global_load_b128 v[158:161], v78, s[4:5] offset:336
	;; [unrolled: 1-line block ×4, first 2 shown]
	global_wb scope:SCOPE_SE
	s_wait_loadcnt_dscnt 0x0
	s_barrier_signal -1
	s_barrier_wait -1
	global_inv scope:SCOPE_SE
	v_mul_f64_e32 v[78:79], v[2:3], v[96:97]
	v_mul_f64_e32 v[80:81], v[48:49], v[100:101]
	;; [unrolled: 1-line block ×24, first 2 shown]
	v_fma_f64 v[78:79], v[14:15], v[94:95], v[78:79]
	v_fma_f64 v[80:81], v[32:33], v[98:99], v[80:81]
	;; [unrolled: 1-line block ×12, first 2 shown]
	v_fma_f64 v[22:23], v[2:3], v[94:95], -v[96:97]
	v_fma_f64 v[20:21], v[48:49], v[98:99], -v[100:101]
	;; [unrolled: 1-line block ×12, first 2 shown]
	v_mul_f64_e32 v[156:157], v[70:71], v[126:127]
	v_mul_f64_e32 v[126:127], v[62:63], v[126:127]
	;; [unrolled: 1-line block ×7, first 2 shown]
	v_add_f64_e32 v[102:103], v[16:17], v[78:79]
	v_add_f64_e64 v[118:119], v[80:81], -v[78:79]
	v_add_f64_e32 v[52:53], v[80:81], v[82:83]
	v_add_f64_e32 v[54:55], v[78:79], v[84:85]
	v_add_f64_e64 v[116:117], v[84:85], -v[82:83]
	v_add_f64_e64 v[120:121], v[82:83], -v[84:85]
	v_add_f64_e32 v[76:77], v[32:33], v[34:35]
	v_add_f64_e32 v[86:87], v[38:39], v[36:37]
	;; [unrolled: 1-line block ×6, first 2 shown]
	v_add_f64_e64 v[128:129], v[38:39], -v[32:33]
	v_add_f64_e64 v[130:131], v[36:37], -v[34:35]
	;; [unrolled: 1-line block ×12, first 2 shown]
	v_fma_f64 v[66:67], v[66:67], v[158:159], v[170:171]
	v_fma_f64 v[64:65], v[64:65], v[162:163], v[172:173]
	v_add_f64_e32 v[102:103], v[102:103], v[80:81]
	v_fma_f64 v[52:53], v[52:53], -0.5, v[16:17]
	v_fma_f64 v[16:17], v[54:55], -0.5, v[16:17]
	v_add_f64_e64 v[54:55], v[48:49], -v[8:9]
	v_fma_f64 v[76:77], v[76:77], -0.5, v[18:19]
	v_fma_f64 v[18:19], v[86:87], -0.5, v[18:19]
	v_add_f64_e64 v[86:87], v[46:47], -v[10:11]
	v_fma_f64 v[94:95], v[94:95], -0.5, v[12:13]
	v_add_f64_e32 v[104:105], v[104:105], v[32:33]
	v_fma_f64 v[12:13], v[96:97], -0.5, v[12:13]
	v_add_f64_e64 v[96:97], v[78:79], -v[80:81]
	v_add_f64_e32 v[106:107], v[106:107], v[24:25]
	v_add_f64_e32 v[102:103], v[102:103], v[82:83]
	v_fma_f64 v[144:145], v[98:99], s[2:3], v[52:53]
	s_wait_alu 0xfffe
	v_fma_f64 v[52:53], v[98:99], s[6:7], v[52:53]
	v_fma_f64 v[146:147], v[100:101], s[6:7], v[16:17]
	;; [unrolled: 1-line block ×11, first 2 shown]
	v_add_f64_e32 v[96:97], v[96:97], v[116:117]
	v_add_f64_e32 v[116:117], v[118:119], v[120:121]
	;; [unrolled: 1-line block ×8, first 2 shown]
	v_fma_f64 v[132:133], v[100:101], s[10:11], v[144:145]
	v_fma_f64 v[100:101], v[100:101], s[12:13], v[52:53]
	;; [unrolled: 1-line block ×9, first 2 shown]
	v_mul_f64_e32 v[94:95], v[60:61], v[168:169]
	v_fma_f64 v[136:137], v[54:55], s[12:13], v[76:77]
	v_fma_f64 v[140:141], v[114:115], s[10:11], v[154:155]
	;; [unrolled: 1-line block ×4, first 2 shown]
	v_fma_f64 v[62:63], v[70:71], v[124:125], -v[126:127]
	v_fma_f64 v[54:55], v[74:75], v[158:159], -v[160:161]
	;; [unrolled: 1-line block ×3, first 2 shown]
	v_fma_f64 v[70:71], v[60:61], v[166:167], v[174:175]
	v_add_f64_e32 v[74:75], v[102:103], v[84:85]
	v_add_f64_e32 v[102:103], v[104:105], v[36:37]
	v_add_f64_e32 v[104:105], v[106:107], v[30:31]
	v_lshlrev_b32_e32 v73, 3, v92
	v_lshlrev_b32_e32 v72, 3, v91
	v_fma_f64 v[106:107], v[96:97], s[14:15], v[132:133]
	v_fma_f64 v[96:97], v[96:97], s[14:15], v[100:101]
	;; [unrolled: 1-line block ×9, first 2 shown]
	v_fma_f64 v[60:61], v[68:69], v[166:167], -v[94:95]
	v_fma_f64 v[114:115], v[118:119], s[14:15], v[136:137]
	v_fma_f64 v[118:119], v[130:131], s[14:15], v[140:141]
	;; [unrolled: 1-line block ×3, first 2 shown]
	v_and_b32_e32 v69, 0xffff, v89
	v_and_b32_e32 v68, 0xffff, v93
	s_delay_alu instid0(VALU_DEP_2) | instskip(NEXT) | instid1(VALU_DEP_2)
	v_mul_u32_u24_e32 v69, 0x3e8, v69
	v_mul_u32_u24_e32 v68, 0x3e8, v68
	s_delay_alu instid0(VALU_DEP_2) | instskip(SKIP_2) | instid1(VALU_DEP_4)
	v_add3_u32 v69, 0, v69, v73
	v_mul_u32_u24_e32 v73, 0x3e8, v88
	v_lshlrev_b32_e32 v88, 3, v90
	v_add3_u32 v72, 0, v68, v72
	v_lshl_add_u32 v68, v180, 3, 0
	s_delay_alu instid0(VALU_DEP_3)
	v_add3_u32 v73, 0, v73, v88
	ds_store_2addr_b64 v72, v[74:75], v[106:107] offset1:25
	ds_store_2addr_b64 v72, v[100:101], v[16:17] offset0:50 offset1:75
	ds_store_b64 v72, v[96:97] offset:800
	ds_store_2addr_b64 v69, v[102:103], v[98:99] offset1:25
	ds_store_2addr_b64 v69, v[116:117], v[18:19] offset0:50 offset1:75
	ds_store_b64 v69, v[114:115] offset:800
	;; [unrolled: 3-line block ×3, first 2 shown]
	s_and_saveexec_b32 s1, s0
	s_cbranch_execz .LBB0_31
; %bb.30:
	v_add_f64_e32 v[16:17], v[66:67], v[64:65]
	v_add_f64_e32 v[12:13], v[76:77], v[70:71]
	v_add_f64_e64 v[18:19], v[62:63], -v[60:61]
	v_add_f64_e32 v[86:87], v[56:57], v[76:77]
	v_add_f64_e64 v[74:75], v[54:55], -v[52:53]
	v_add_f64_e64 v[88:89], v[64:65], -v[70:71]
	;; [unrolled: 1-line block ×4, first 2 shown]
	v_fma_f64 v[16:17], v[16:17], -0.5, v[56:57]
	v_fma_f64 v[12:13], v[12:13], -0.5, v[56:57]
	v_add_f64_e64 v[56:57], v[66:67], -v[76:77]
	v_add_f64_e32 v[86:87], v[86:87], v[66:67]
	s_delay_alu instid0(VALU_DEP_4) | instskip(NEXT) | instid1(VALU_DEP_4)
	v_fma_f64 v[96:97], v[18:19], s[2:3], v[16:17]
	v_fma_f64 v[94:95], v[74:75], s[2:3], v[12:13]
	;; [unrolled: 1-line block ×4, first 2 shown]
	v_add_f64_e32 v[56:57], v[56:57], v[88:89]
	v_add_f64_e32 v[88:89], v[90:91], v[92:93]
	;; [unrolled: 1-line block ×3, first 2 shown]
	v_fma_f64 v[92:93], v[74:75], s[10:11], v[96:97]
	v_fma_f64 v[90:91], v[18:19], s[12:13], v[94:95]
	;; [unrolled: 1-line block ×4, first 2 shown]
	v_add_f64_e32 v[18:19], v[86:87], v[70:71]
	v_fma_f64 v[86:87], v[88:89], s[14:15], v[92:93]
	v_fma_f64 v[74:75], v[56:57], s[14:15], v[90:91]
	;; [unrolled: 1-line block ×4, first 2 shown]
	v_add_nc_u32_e32 v56, 0x3800, v68
	ds_store_2addr_b64 v56, v[18:19], v[86:87] offset0:83 offset1:108
	ds_store_2addr_b64 v56, v[12:13], v[74:75] offset0:133 offset1:158
	ds_store_b64 v68, v[16:17] offset:15800
.LBB0_31:
	s_wait_alu 0xfffe
	s_or_b32 exec_lo, exec_lo, s1
	v_add_f64_e32 v[12:13], v[20:21], v[14:15]
	v_add_f64_e32 v[16:17], v[22:23], v[2:3]
	;; [unrolled: 1-line block ×7, first 2 shown]
	v_add_f64_e64 v[78:79], v[78:79], -v[84:85]
	v_add_f64_e64 v[80:81], v[80:81], -v[82:83]
	v_add_f64_e32 v[82:83], v[6:7], v[44:45]
	v_add_f64_e32 v[84:85], v[0:1], v[50:51]
	v_add_f64_e64 v[36:37], v[38:39], -v[36:37]
	v_add_f64_e64 v[28:29], v[28:29], -v[30:31]
	;; [unrolled: 1-line block ×9, first 2 shown]
	global_wb scope:SCOPE_SE
	s_wait_dscnt 0x0
	s_barrier_signal -1
	s_barrier_wait -1
	global_inv scope:SCOPE_SE
	v_fma_f64 v[12:13], v[12:13], -0.5, v[4:5]
	v_fma_f64 v[4:5], v[16:17], -0.5, v[4:5]
	;; [unrolled: 1-line block ×3, first 2 shown]
	v_add_f64_e64 v[16:17], v[32:33], -v[34:35]
	v_fma_f64 v[6:7], v[56:57], -0.5, v[6:7]
	v_fma_f64 v[26:27], v[74:75], -0.5, v[0:1]
	;; [unrolled: 1-line block ×3, first 2 shown]
	v_add_f64_e64 v[32:33], v[2:3], -v[14:15]
	v_add_f64_e32 v[20:21], v[88:89], v[20:21]
	v_add_f64_e32 v[48:49], v[82:83], v[48:49]
	v_add_f64_e64 v[34:35], v[14:15], -v[2:3]
	v_add_f64_e64 v[86:87], v[50:51], -v[46:47]
	;; [unrolled: 1-line block ×3, first 2 shown]
	v_add_f64_e32 v[46:47], v[84:85], v[46:47]
	v_add_f64_e64 v[56:57], v[42:43], -v[8:9]
	v_add_f64_e64 v[74:75], v[8:9], -v[42:43]
	v_fma_f64 v[82:83], v[78:79], s[6:7], v[12:13]
	v_fma_f64 v[84:85], v[80:81], s[2:3], v[4:5]
	;; [unrolled: 1-line block ×12, first 2 shown]
	v_add_f64_e32 v[30:31], v[30:31], v[32:33]
	v_add_f64_e32 v[14:15], v[20:21], v[14:15]
	;; [unrolled: 1-line block ×9, first 2 shown]
	v_fma_f64 v[20:21], v[80:81], s[12:13], v[82:83]
	v_fma_f64 v[46:47], v[78:79], s[12:13], v[84:85]
	;; [unrolled: 1-line block ×12, first 2 shown]
	v_add_f64_e32 v[56:57], v[14:15], v[2:3]
	v_add_f64_e32 v[40:41], v[10:11], v[40:41]
	;; [unrolled: 1-line block ×3, first 2 shown]
	v_add_nc_u32_e32 v8, 0x2000, v122
	v_fma_f64 v[74:75], v[30:31], s[14:15], v[20:21]
	v_fma_f64 v[46:47], v[22:23], s[14:15], v[46:47]
	;; [unrolled: 1-line block ×12, first 2 shown]
	v_add_nc_u32_e32 v4, 0x7c0, v122
	v_add_nc_u32_e32 v5, 0x1000, v122
	v_add_nc_u32_e32 v6, 0x1800, v122
	v_add_nc_u32_e32 v12, 0x2800, v122
	v_add_nc_u32_e32 v24, 0x3000, v122
	ds_load_2addr_b64 v[0:3], v122 offset1:125
	ds_load_b64 v[28:29], v123 offset:3000
	ds_load_b64 v[30:31], v122 offset:15000
	ds_load_2addr_b64 v[16:19], v4 offset0:2 offset1:252
	ds_load_2addr_b64 v[20:23], v5 offset0:113 offset1:238
	ds_load_2addr_b64 v[4:7], v6 offset0:107 offset1:232
	ds_load_2addr_b64 v[8:11], v8 offset0:101 offset1:226
	ds_load_2addr_b64 v[12:15], v12 offset0:95 offset1:220
	ds_load_2addr_b64 v[24:27], v24 offset0:89 offset1:214
	global_wb scope:SCOPE_SE
	s_wait_dscnt 0x0
	s_barrier_signal -1
	s_barrier_wait -1
	global_inv scope:SCOPE_SE
	ds_store_2addr_b64 v72, v[56:57], v[74:75] offset1:25
	ds_store_2addr_b64 v72, v[46:47], v[80:81] offset0:50 offset1:75
	ds_store_b64 v72, v[78:79] offset:800
	ds_store_2addr_b64 v69, v[42:43], v[48:49] offset1:25
	ds_store_2addr_b64 v69, v[82:83], v[34:35] offset0:50 offset1:75
	ds_store_b64 v69, v[32:33] offset:800
	;; [unrolled: 3-line block ×3, first 2 shown]
	s_and_saveexec_b32 s1, s0
	s_cbranch_execz .LBB0_33
; %bb.32:
	v_add_f64_e32 v[32:33], v[54:55], v[52:53]
	v_add_f64_e32 v[34:35], v[62:63], v[60:61]
	;; [unrolled: 1-line block ×3, first 2 shown]
	v_add_f64_e64 v[38:39], v[76:77], -v[70:71]
	v_add_f64_e64 v[40:41], v[66:67], -v[64:65]
	s_mov_b32 s2, 0x134454ff
	s_mov_b32 s3, 0x3fee6f0e
	;; [unrolled: 1-line block ×3, first 2 shown]
	s_wait_alu 0xfffe
	s_mov_b32 s6, s2
	v_add_f64_e64 v[42:43], v[62:63], -v[54:55]
	v_add_f64_e64 v[44:45], v[60:61], -v[52:53]
	;; [unrolled: 1-line block ×4, first 2 shown]
	v_fma_f64 v[32:33], v[32:33], -0.5, v[58:59]
	v_fma_f64 v[34:35], v[34:35], -0.5, v[58:59]
	v_add_f64_e32 v[36:37], v[36:37], v[54:55]
	v_add_f64_e32 v[42:43], v[42:43], v[44:45]
	;; [unrolled: 1-line block ×3, first 2 shown]
	v_fma_f64 v[50:51], v[38:39], s[2:3], v[32:33]
	s_wait_alu 0xfffe
	v_fma_f64 v[54:55], v[40:41], s[6:7], v[34:35]
	v_fma_f64 v[34:35], v[40:41], s[2:3], v[34:35]
	;; [unrolled: 1-line block ×3, first 2 shown]
	s_mov_b32 s2, 0x4755a5e
	s_mov_b32 s3, 0x3fe2cf23
	;; [unrolled: 1-line block ×3, first 2 shown]
	s_wait_alu 0xfffe
	s_mov_b32 s6, s2
	v_add_f64_e32 v[36:37], v[36:37], v[52:53]
	v_fma_f64 v[46:47], v[40:41], s[2:3], v[50:51]
	v_fma_f64 v[48:49], v[38:39], s[2:3], v[54:55]
	s_wait_alu 0xfffe
	v_fma_f64 v[34:35], v[38:39], s[6:7], v[34:35]
	v_fma_f64 v[32:33], v[40:41], s[6:7], v[32:33]
	s_mov_b32 s2, 0x372fe950
	s_mov_b32 s3, 0x3fd3c6ef
	v_add_f64_e32 v[36:37], v[36:37], v[60:61]
	s_wait_alu 0xfffe
	v_fma_f64 v[38:39], v[42:43], s[2:3], v[46:47]
	v_fma_f64 v[40:41], v[44:45], s[2:3], v[48:49]
	;; [unrolled: 1-line block ×4, first 2 shown]
	v_add_nc_u32_e32 v42, 0x3800, v68
	ds_store_2addr_b64 v42, v[36:37], v[38:39] offset0:83 offset1:108
	ds_store_2addr_b64 v42, v[40:41], v[34:35] offset0:133 offset1:158
	ds_store_b64 v68, v[32:33] offset:15800
.LBB0_33:
	s_wait_alu 0xfffe
	s_or_b32 exec_lo, exec_lo, s1
	global_wb scope:SCOPE_SE
	s_wait_dscnt 0x0
	s_barrier_signal -1
	s_barrier_wait -1
	global_inv scope:SCOPE_SE
	s_and_saveexec_b32 s0, vcc_lo
	s_cbranch_execz .LBB0_35
; %bb.34:
	v_mul_u32_u24_e32 v32, 15, v111
	v_add_nc_u32_e32 v92, 0x7c0, v122
	v_add_nc_u32_e32 v96, 0x2000, v122
	v_add_nc_u32_e32 v104, 0x1800, v122
	v_add_nc_u32_e32 v111, 0x2800, v122
	v_lshlrev_b32_e32 v88, 4, v32
	v_add_nc_u32_e32 v115, 0x1000, v122
	v_add_nc_u32_e32 v121, 0x3000, v122
	s_mov_b32 s0, 0x667f3bcd
	s_mov_b32 s1, 0x3fe6a09e
	s_clause 0xe
	global_load_b128 v[32:35], v88, s[4:5] offset:2032
	global_load_b128 v[36:39], v88, s[4:5] offset:1968
	global_load_b128 v[40:43], v88, s[4:5] offset:2096
	global_load_b128 v[44:47], v88, s[4:5] offset:1936
	global_load_b128 v[48:51], v88, s[4:5] offset:2064
	global_load_b128 v[52:55], v88, s[4:5] offset:2000
	global_load_b128 v[56:59], v88, s[4:5] offset:2128
	global_load_b128 v[60:63], v88, s[4:5] offset:1920
	global_load_b128 v[64:67], v88, s[4:5] offset:2048
	global_load_b128 v[68:71], v88, s[4:5] offset:1984
	global_load_b128 v[72:75], v88, s[4:5] offset:2112
	global_load_b128 v[76:79], v88, s[4:5] offset:1952
	global_load_b128 v[80:83], v88, s[4:5] offset:2080
	global_load_b128 v[84:87], v88, s[4:5] offset:2016
	global_load_b128 v[88:91], v88, s[4:5] offset:2144
	ds_load_2addr_b64 v[92:95], v92 offset0:2 offset1:252
	ds_load_2addr_b64 v[96:99], v96 offset0:101 offset1:226
	ds_load_2addr_b64 v[100:103], v122 offset1:125
	ds_load_b64 v[119:120], v123 offset:3000
	ds_load_2addr_b64 v[104:107], v104 offset0:107 offset1:232
	ds_load_2addr_b64 v[111:114], v111 offset0:95 offset1:220
	;; [unrolled: 1-line block ×4, first 2 shown]
	ds_load_b64 v[121:122], v122 offset:15000
	s_mov_b32 s3, 0xbfe6a09e
	s_wait_alu 0xfffe
	s_mov_b32 s2, s0
	s_mov_b32 s4, 0xcf328d46
	;; [unrolled: 1-line block ×6, first 2 shown]
	s_wait_alu 0xfffe
	s_mov_b32 s10, s6
	s_mov_b32 s13, 0xbfed906b
	;; [unrolled: 1-line block ×3, first 2 shown]
	s_wait_loadcnt 0xe
	v_mul_f64_e32 v[127:128], v[6:7], v[34:35]
	s_wait_loadcnt 0xd
	v_mul_f64_e32 v[129:130], v[18:19], v[36:37]
	s_wait_loadcnt 0xc
	v_mul_f64_e32 v[131:132], v[14:15], v[40:41]
	s_wait_loadcnt 0xb
	v_mul_f64_e32 v[133:134], v[16:17], v[46:47]
	s_wait_loadcnt 0xa
	v_mul_f64_e32 v[135:136], v[10:11], v[50:51]
	s_wait_loadcnt 0x9
	v_mul_f64_e32 v[137:138], v[22:23], v[52:53]
	s_wait_loadcnt 0x8
	v_mul_f64_e32 v[139:140], v[26:27], v[56:57]
	s_wait_dscnt 0x8
	v_mul_f64_e32 v[46:47], v[92:93], v[46:47]
	s_wait_dscnt 0x7
	v_mul_f64_e32 v[50:51], v[98:99], v[50:51]
	v_mul_f64_e32 v[22:23], v[22:23], v[54:55]
	;; [unrolled: 1-line block ×3, first 2 shown]
	s_wait_loadcnt 0x7
	v_mul_f64_e32 v[141:142], v[2:3], v[62:63]
	s_wait_loadcnt 0x6
	v_mul_f64_e32 v[143:144], v[8:9], v[66:67]
	;; [unrolled: 2-line block ×8, first 2 shown]
	s_wait_dscnt 0x5
	v_mul_f64_e32 v[78:79], v[119:120], v[78:79]
	s_wait_dscnt 0x3
	v_mul_f64_e32 v[82:83], v[111:112], v[82:83]
	v_mul_f64_e32 v[4:5], v[4:5], v[86:87]
	;; [unrolled: 1-line block ×10, first 2 shown]
	v_fma_f64 v[106:107], v[106:107], v[32:33], -v[127:128]
	v_fma_f64 v[38:39], v[94:95], v[38:39], v[129:130]
	v_fma_f64 v[42:43], v[113:114], v[42:43], v[131:132]
	v_fma_f64 v[92:93], v[92:93], v[44:45], -v[133:134]
	v_fma_f64 v[98:99], v[98:99], v[48:49], -v[135:136]
	s_wait_dscnt 0x2
	v_fma_f64 v[54:55], v[117:118], v[54:55], v[137:138]
	s_wait_dscnt 0x1
	v_fma_f64 v[58:59], v[125:126], v[58:59], v[139:140]
	v_fma_f64 v[16:17], v[16:17], v[44:45], v[46:47]
	;; [unrolled: 1-line block ×3, first 2 shown]
	v_fma_f64 v[22:23], v[117:118], v[52:53], -v[22:23]
	v_fma_f64 v[26:27], v[125:126], v[56:57], -v[26:27]
	;; [unrolled: 1-line block ×4, first 2 shown]
	v_fma_f64 v[48:49], v[115:116], v[70:71], v[145:146]
	v_fma_f64 v[50:51], v[123:124], v[74:75], v[147:148]
	v_fma_f64 v[52:53], v[119:120], v[76:77], -v[149:150]
	v_fma_f64 v[56:57], v[111:112], v[80:81], -v[151:152]
	v_mov_b32_e32 v111, 0
	v_fma_f64 v[70:71], v[104:105], v[86:87], v[153:154]
	s_wait_dscnt 0x0
	v_fma_f64 v[74:75], v[121:122], v[90:91], v[155:156]
	v_fma_f64 v[28:29], v[28:29], v[76:77], v[78:79]
	;; [unrolled: 1-line block ×3, first 2 shown]
	v_fma_f64 v[4:5], v[104:105], v[84:85], -v[4:5]
	v_fma_f64 v[30:31], v[121:122], v[88:89], -v[30:31]
	v_fma_f64 v[2:3], v[2:3], v[60:61], v[62:63]
	v_fma_f64 v[8:9], v[8:9], v[64:65], v[66:67]
	v_fma_f64 v[20:21], v[115:116], v[68:69], -v[20:21]
	v_fma_f64 v[24:25], v[123:124], v[72:73], -v[24:25]
	;; [unrolled: 1-line block ×4, first 2 shown]
	v_fma_f64 v[6:7], v[6:7], v[32:33], v[34:35]
	v_add_f64_e64 v[32:33], v[100:101], -v[106:107]
	v_add_f64_e64 v[34:35], v[38:39], -v[42:43]
	;; [unrolled: 1-line block ×16, first 2 shown]
	v_fma_f64 v[76:77], v[100:101], 2.0, -v[32:33]
	v_add_f64_e64 v[58:59], v[32:33], -v[34:35]
	v_add_f64_e64 v[60:61], v[36:37], -v[40:41]
	v_fma_f64 v[16:17], v[16:17], 2.0, -v[10:11]
	v_add_f64_e32 v[62:63], v[10:11], v[26:27]
	v_fma_f64 v[22:23], v[22:23], 2.0, -v[26:27]
	v_fma_f64 v[44:45], v[44:45], 2.0, -v[42:43]
	v_add_f64_e64 v[64:65], v[42:43], -v[46:47]
	v_fma_f64 v[26:27], v[48:49], 2.0, -v[46:47]
	v_add_f64_e64 v[66:67], v[50:51], -v[56:57]
	v_fma_f64 v[46:47], v[70:71], 2.0, -v[56:57]
	v_fma_f64 v[28:29], v[28:29], 2.0, -v[12:13]
	v_add_f64_e32 v[68:69], v[12:13], v[30:31]
	v_fma_f64 v[4:5], v[4:5], 2.0, -v[30:31]
	v_fma_f64 v[2:3], v[2:3], 2.0, -v[8:9]
	;; [unrolled: 1-line block ×3, first 2 shown]
	v_add_f64_e32 v[72:73], v[8:9], v[24:25]
	v_fma_f64 v[20:21], v[20:21], 2.0, -v[24:25]
	v_fma_f64 v[24:25], v[52:53], 2.0, -v[50:51]
	v_add_f64_e32 v[74:75], v[6:7], v[14:15]
	v_fma_f64 v[14:15], v[18:19], 2.0, -v[14:15]
	v_fma_f64 v[18:19], v[54:55], 2.0, -v[40:41]
	;; [unrolled: 1-line block ×8, first 2 shown]
	v_fma_f64 v[42:43], v[60:61], s[0:1], v[58:59]
	v_fma_f64 v[38:39], v[50:51], 2.0, -v[66:67]
	v_fma_f64 v[48:49], v[66:67], s[0:1], v[64:65]
	v_add_f64_e64 v[46:47], v[28:29], -v[46:47]
	v_fma_f64 v[12:13], v[12:13], 2.0, -v[68:69]
	v_add_f64_e64 v[26:27], v[2:3], -v[26:27]
	v_fma_f64 v[8:9], v[8:9], 2.0, -v[72:73]
	v_fma_f64 v[50:51], v[68:69], s[0:1], v[72:73]
	v_add_f64_e64 v[20:21], v[44:45], -v[20:21]
	v_fma_f64 v[6:7], v[6:7], 2.0, -v[74:75]
	v_add_f64_e64 v[14:15], v[76:77], -v[14:15]
	v_fma_f64 v[52:53], v[62:63], s[0:1], v[74:75]
	v_add_f64_e64 v[22:23], v[40:41], -v[22:23]
	v_add_f64_e64 v[18:19], v[16:17], -v[18:19]
	;; [unrolled: 1-line block ×4, first 2 shown]
	v_fma_f64 v[54:55], v[34:35], s[2:3], v[32:33]
	v_fma_f64 v[42:43], v[62:63], s[2:3], v[42:43]
	;; [unrolled: 1-line block ×4, first 2 shown]
	v_fma_f64 v[28:29], v[28:29], 2.0, -v[46:47]
	v_fma_f64 v[2:3], v[2:3], 2.0, -v[26:27]
	v_fma_f64 v[70:71], v[12:13], s[2:3], v[8:9]
	v_fma_f64 v[50:51], v[66:67], s[0:1], v[50:51]
	v_add_f64_e64 v[46:47], v[20:21], -v[46:47]
	v_fma_f64 v[78:79], v[10:11], s[2:3], v[6:7]
	v_fma_f64 v[62:63], v[76:77], 2.0, -v[14:15]
	v_fma_f64 v[52:53], v[60:61], s[0:1], v[52:53]
	v_fma_f64 v[40:41], v[40:41], 2.0, -v[22:23]
	v_add_f64_e64 v[60:61], v[14:15], -v[18:19]
	v_add_f64_e32 v[66:67], v[26:27], v[4:5]
	v_add_f64_e32 v[68:69], v[30:31], v[22:23]
	v_fma_f64 v[0:1], v[0:1], 2.0, -v[30:31]
	v_fma_f64 v[16:17], v[16:17], 2.0, -v[18:19]
	;; [unrolled: 1-line block ×4, first 2 shown]
	v_fma_f64 v[54:55], v[10:11], s[2:3], v[54:55]
	v_fma_f64 v[44:45], v[58:59], 2.0, -v[42:43]
	v_fma_f64 v[24:25], v[12:13], s[2:3], v[56:57]
	v_fma_f64 v[12:13], v[64:65], 2.0, -v[48:49]
	v_add_f64_e64 v[10:11], v[2:3], -v[28:29]
	v_fma_f64 v[22:23], v[38:39], s[0:1], v[70:71]
	v_fma_f64 v[28:29], v[72:73], 2.0, -v[50:51]
	v_fma_f64 v[20:21], v[20:21], 2.0, -v[46:47]
	v_fma_f64 v[56:57], v[34:35], s[0:1], v[78:79]
	v_fma_f64 v[70:71], v[74:75], 2.0, -v[52:53]
	v_add_f64_e64 v[40:41], v[62:63], -v[40:41]
	v_fma_f64 v[58:59], v[14:15], 2.0, -v[60:61]
	v_fma_f64 v[26:27], v[26:27], 2.0, -v[66:67]
	;; [unrolled: 1-line block ×3, first 2 shown]
	v_add_f64_e64 v[72:73], v[0:1], -v[16:17]
	v_fma_f64 v[16:17], v[50:51], s[4:5], v[52:53]
	v_add_f64_e64 v[14:15], v[18:19], -v[4:5]
	v_fma_f64 v[4:5], v[48:49], s[4:5], v[42:43]
	v_fma_f64 v[74:75], v[32:33], 2.0, -v[54:55]
	v_fma_f64 v[32:33], v[36:37], 2.0, -v[24:25]
	v_fma_f64 v[38:39], v[12:13], s[6:7], v[44:45]
	s_wait_alu 0xfffe
	v_fma_f64 v[34:35], v[24:25], s[10:11], v[54:55]
	v_fma_f64 v[88:89], v[2:3], 2.0, -v[10:11]
	v_fma_f64 v[30:31], v[8:9], 2.0, -v[22:23]
	v_fma_f64 v[8:9], v[66:67], s[0:1], v[68:69]
	v_fma_f64 v[76:77], v[6:7], 2.0, -v[56:57]
	v_fma_f64 v[6:7], v[46:47], s[0:1], v[60:61]
	v_fma_f64 v[82:83], v[28:29], s[6:7], v[70:71]
	;; [unrolled: 1-line block ×4, first 2 shown]
	v_fma_f64 v[62:63], v[62:63], 2.0, -v[40:41]
	v_fma_f64 v[80:81], v[26:27], s[2:3], v[64:65]
	v_add_f64_e64 v[10:11], v[40:41], -v[10:11]
	v_fma_f64 v[86:87], v[0:1], 2.0, -v[72:73]
	v_fma_f64 v[0:1], v[48:49], s[10:11], v[16:17]
	v_fma_f64 v[84:85], v[18:19], 2.0, -v[14:15]
	v_fma_f64 v[2:3], v[50:51], s[6:7], v[4:5]
	v_fma_f64 v[90:91], v[32:33], s[12:13], v[74:75]
	;; [unrolled: 1-line block ×4, first 2 shown]
	v_add_f64_e32 v[8:9], v[72:73], v[14:15]
	v_fma_f64 v[92:93], v[30:31], s[12:13], v[76:77]
	v_fma_f64 v[6:7], v[66:67], s[2:3], v[6:7]
	;; [unrolled: 1-line block ×5, first 2 shown]
	v_add_co_u32 v66, vcc_lo, s8, v108
	v_fma_f64 v[16:17], v[20:21], s[0:1], v[80:81]
	v_fma_f64 v[20:21], v[24:25], s[4:5], v[36:37]
	v_add_f64_e64 v[24:25], v[86:87], -v[88:89]
	v_add_f64_e64 v[26:27], v[62:63], -v[84:85]
	v_fma_f64 v[34:35], v[42:43], 2.0, -v[2:3]
	v_fma_f64 v[42:43], v[40:41], 2.0, -v[10:11]
	s_wait_alu 0xfffd
	v_add_co_ci_u32_e32 v67, vcc_lo, s9, v109, vcc_lo
	v_fma_f64 v[30:31], v[30:31], s[6:7], v[90:91]
	v_fma_f64 v[54:55], v[54:55], 2.0, -v[22:23]
	v_fma_f64 v[36:37], v[68:69], 2.0, -v[4:5]
	;; [unrolled: 1-line block ×3, first 2 shown]
	v_fma_f64 v[28:29], v[32:33], s[10:11], v[92:93]
	v_fma_f64 v[38:39], v[60:61], 2.0, -v[6:7]
	v_fma_f64 v[32:33], v[52:53], 2.0, -v[0:1]
	;; [unrolled: 1-line block ×9, first 2 shown]
	v_lshlrev_b64_e32 v[64:65], 4, v[110:111]
	s_delay_alu instid0(VALU_DEP_1) | instskip(SKIP_1) | instid1(VALU_DEP_2)
	v_add_co_u32 v64, vcc_lo, v66, v64
	s_wait_alu 0xfffd
	v_add_co_ci_u32_e32 v65, vcc_lo, v67, v65, vcc_lo
	v_fma_f64 v[62:63], v[74:75], 2.0, -v[30:31]
	v_fma_f64 v[60:61], v[76:77], 2.0, -v[28:29]
	s_clause 0xf
	global_store_b128 v[64:65], v[36:39], off offset:12000
	global_store_b128 v[64:65], v[32:35], off offset:14000
	;; [unrolled: 1-line block ×12, first 2 shown]
	global_store_b128 v[64:65], v[56:59], off
	global_store_b128 v[64:65], v[60:63], off offset:2000
	global_store_b128 v[64:65], v[4:7], off offset:28000
	;; [unrolled: 1-line block ×3, first 2 shown]
.LBB0_35:
	s_nop 0
	s_sendmsg sendmsg(MSG_DEALLOC_VGPRS)
	s_endpgm
	.section	.rodata,"a",@progbits
	.p2align	6, 0x0
	.amdhsa_kernel fft_rtc_back_len2000_factors_5_5_5_16_wgs_125_tpt_125_halfLds_dp_ip_CI_unitstride_sbrr_dirReg
		.amdhsa_group_segment_fixed_size 0
		.amdhsa_private_segment_fixed_size 0
		.amdhsa_kernarg_size 88
		.amdhsa_user_sgpr_count 2
		.amdhsa_user_sgpr_dispatch_ptr 0
		.amdhsa_user_sgpr_queue_ptr 0
		.amdhsa_user_sgpr_kernarg_segment_ptr 1
		.amdhsa_user_sgpr_dispatch_id 0
		.amdhsa_user_sgpr_private_segment_size 0
		.amdhsa_wavefront_size32 1
		.amdhsa_uses_dynamic_stack 0
		.amdhsa_enable_private_segment 0
		.amdhsa_system_sgpr_workgroup_id_x 1
		.amdhsa_system_sgpr_workgroup_id_y 0
		.amdhsa_system_sgpr_workgroup_id_z 0
		.amdhsa_system_sgpr_workgroup_info 0
		.amdhsa_system_vgpr_workitem_id 0
		.amdhsa_next_free_vgpr 198
		.amdhsa_next_free_sgpr 32
		.amdhsa_reserve_vcc 1
		.amdhsa_float_round_mode_32 0
		.amdhsa_float_round_mode_16_64 0
		.amdhsa_float_denorm_mode_32 3
		.amdhsa_float_denorm_mode_16_64 3
		.amdhsa_fp16_overflow 0
		.amdhsa_workgroup_processor_mode 1
		.amdhsa_memory_ordered 1
		.amdhsa_forward_progress 0
		.amdhsa_round_robin_scheduling 0
		.amdhsa_exception_fp_ieee_invalid_op 0
		.amdhsa_exception_fp_denorm_src 0
		.amdhsa_exception_fp_ieee_div_zero 0
		.amdhsa_exception_fp_ieee_overflow 0
		.amdhsa_exception_fp_ieee_underflow 0
		.amdhsa_exception_fp_ieee_inexact 0
		.amdhsa_exception_int_div_zero 0
	.end_amdhsa_kernel
	.text
.Lfunc_end0:
	.size	fft_rtc_back_len2000_factors_5_5_5_16_wgs_125_tpt_125_halfLds_dp_ip_CI_unitstride_sbrr_dirReg, .Lfunc_end0-fft_rtc_back_len2000_factors_5_5_5_16_wgs_125_tpt_125_halfLds_dp_ip_CI_unitstride_sbrr_dirReg
                                        ; -- End function
	.section	.AMDGPU.csdata,"",@progbits
; Kernel info:
; codeLenInByte = 12976
; NumSgprs: 34
; NumVgprs: 198
; ScratchSize: 0
; MemoryBound: 1
; FloatMode: 240
; IeeeMode: 1
; LDSByteSize: 0 bytes/workgroup (compile time only)
; SGPRBlocks: 4
; VGPRBlocks: 24
; NumSGPRsForWavesPerEU: 34
; NumVGPRsForWavesPerEU: 198
; Occupancy: 7
; WaveLimiterHint : 1
; COMPUTE_PGM_RSRC2:SCRATCH_EN: 0
; COMPUTE_PGM_RSRC2:USER_SGPR: 2
; COMPUTE_PGM_RSRC2:TRAP_HANDLER: 0
; COMPUTE_PGM_RSRC2:TGID_X_EN: 1
; COMPUTE_PGM_RSRC2:TGID_Y_EN: 0
; COMPUTE_PGM_RSRC2:TGID_Z_EN: 0
; COMPUTE_PGM_RSRC2:TIDIG_COMP_CNT: 0
	.text
	.p2alignl 7, 3214868480
	.fill 96, 4, 3214868480
	.type	__hip_cuid_bbd2eab3412c3068,@object ; @__hip_cuid_bbd2eab3412c3068
	.section	.bss,"aw",@nobits
	.globl	__hip_cuid_bbd2eab3412c3068
__hip_cuid_bbd2eab3412c3068:
	.byte	0                               ; 0x0
	.size	__hip_cuid_bbd2eab3412c3068, 1

	.ident	"AMD clang version 19.0.0git (https://github.com/RadeonOpenCompute/llvm-project roc-6.4.0 25133 c7fe45cf4b819c5991fe208aaa96edf142730f1d)"
	.section	".note.GNU-stack","",@progbits
	.addrsig
	.addrsig_sym __hip_cuid_bbd2eab3412c3068
	.amdgpu_metadata
---
amdhsa.kernels:
  - .args:
      - .actual_access:  read_only
        .address_space:  global
        .offset:         0
        .size:           8
        .value_kind:     global_buffer
      - .offset:         8
        .size:           8
        .value_kind:     by_value
      - .actual_access:  read_only
        .address_space:  global
        .offset:         16
        .size:           8
        .value_kind:     global_buffer
      - .actual_access:  read_only
        .address_space:  global
        .offset:         24
        .size:           8
        .value_kind:     global_buffer
      - .offset:         32
        .size:           8
        .value_kind:     by_value
      - .actual_access:  read_only
        .address_space:  global
        .offset:         40
        .size:           8
        .value_kind:     global_buffer
      - .actual_access:  read_only
        .address_space:  global
        .offset:         48
        .size:           8
        .value_kind:     global_buffer
      - .offset:         56
        .size:           4
        .value_kind:     by_value
      - .actual_access:  read_only
        .address_space:  global
        .offset:         64
        .size:           8
        .value_kind:     global_buffer
      - .actual_access:  read_only
        .address_space:  global
        .offset:         72
        .size:           8
        .value_kind:     global_buffer
      - .address_space:  global
        .offset:         80
        .size:           8
        .value_kind:     global_buffer
    .group_segment_fixed_size: 0
    .kernarg_segment_align: 8
    .kernarg_segment_size: 88
    .language:       OpenCL C
    .language_version:
      - 2
      - 0
    .max_flat_workgroup_size: 125
    .name:           fft_rtc_back_len2000_factors_5_5_5_16_wgs_125_tpt_125_halfLds_dp_ip_CI_unitstride_sbrr_dirReg
    .private_segment_fixed_size: 0
    .sgpr_count:     34
    .sgpr_spill_count: 0
    .symbol:         fft_rtc_back_len2000_factors_5_5_5_16_wgs_125_tpt_125_halfLds_dp_ip_CI_unitstride_sbrr_dirReg.kd
    .uniform_work_group_size: 1
    .uses_dynamic_stack: false
    .vgpr_count:     198
    .vgpr_spill_count: 0
    .wavefront_size: 32
    .workgroup_processor_mode: 1
amdhsa.target:   amdgcn-amd-amdhsa--gfx1201
amdhsa.version:
  - 1
  - 2
...

	.end_amdgpu_metadata
